;; amdgpu-corpus repo=ROCm/rocFFT kind=compiled arch=gfx906 opt=O3
	.text
	.amdgcn_target "amdgcn-amd-amdhsa--gfx906"
	.amdhsa_code_object_version 6
	.protected	fft_rtc_back_len192_factors_3_4_4_4_wgs_256_tpt_16_halfLds_dim3_sp_ip_CI_unitstride_sbrr_dirReg ; -- Begin function fft_rtc_back_len192_factors_3_4_4_4_wgs_256_tpt_16_halfLds_dim3_sp_ip_CI_unitstride_sbrr_dirReg
	.globl	fft_rtc_back_len192_factors_3_4_4_4_wgs_256_tpt_16_halfLds_dim3_sp_ip_CI_unitstride_sbrr_dirReg
	.p2align	8
	.type	fft_rtc_back_len192_factors_3_4_4_4_wgs_256_tpt_16_halfLds_dim3_sp_ip_CI_unitstride_sbrr_dirReg,@function
fft_rtc_back_len192_factors_3_4_4_4_wgs_256_tpt_16_halfLds_dim3_sp_ip_CI_unitstride_sbrr_dirReg: ; @fft_rtc_back_len192_factors_3_4_4_4_wgs_256_tpt_16_halfLds_dim3_sp_ip_CI_unitstride_sbrr_dirReg
; %bb.0:
	s_load_dwordx4 s[0:3], s[4:5], 0x8
	v_lshrrev_b32_e32 v30, 4, v0
	v_mov_b32_e32 v1, 0
	v_lshl_or_b32 v3, s6, 4, v30
	v_mov_b32_e32 v4, 0
	s_waitcnt lgkmcnt(0)
	s_load_dwordx2 s[8:9], s[0:1], 0x8
	v_mov_b32_e32 v2, 0
	v_mov_b32_e32 v6, v2
	v_mov_b32_e32 v5, v1
	s_waitcnt lgkmcnt(0)
	v_cmp_le_u64_e32 vcc, s[8:9], v[3:4]
	s_and_saveexec_b64 s[6:7], vcc
	s_cbranch_execz .LBB0_2
; %bb.1:
	v_cvt_f32_u32_e32 v5, s8
	s_sub_i32 s10, 0, s8
	v_rcp_iflag_f32_e32 v5, v5
	v_mul_f32_e32 v5, 0x4f7ffffe, v5
	v_cvt_u32_f32_e32 v5, v5
	v_mul_lo_u32 v6, s10, v5
	v_mul_hi_u32 v6, v5, v6
	v_add_u32_e32 v5, v5, v6
	v_mul_hi_u32 v5, v3, v5
	v_mul_lo_u32 v6, v5, s8
	v_add_u32_e32 v7, 1, v5
	v_sub_u32_e32 v6, v3, v6
	v_subrev_u32_e32 v8, s8, v6
	v_cmp_le_u32_e32 vcc, s8, v6
	v_cndmask_b32_e32 v6, v6, v8, vcc
	v_cndmask_b32_e32 v5, v5, v7, vcc
	v_add_u32_e32 v7, 1, v5
	v_cmp_le_u32_e32 vcc, s8, v6
	v_cndmask_b32_e32 v5, v5, v7, vcc
	v_mov_b32_e32 v6, v4
.LBB0_2:
	s_or_b64 exec, exec, s[6:7]
	s_load_dwordx2 s[6:7], s[0:1], 0x10
	s_load_dwordx2 s[10:11], s[2:3], 0x8
	s_waitcnt lgkmcnt(0)
	v_cmp_le_u64_e32 vcc, s[6:7], v[5:6]
	s_and_saveexec_b64 s[0:1], vcc
	s_cbranch_execz .LBB0_4
; %bb.3:
	v_cvt_f32_u32_e32 v1, s6
	s_sub_i32 s12, 0, s6
	v_rcp_iflag_f32_e32 v1, v1
	v_mul_f32_e32 v1, 0x4f7ffffe, v1
	v_cvt_u32_f32_e32 v1, v1
	v_mul_lo_u32 v2, s12, v1
	v_mul_hi_u32 v2, v1, v2
	v_add_u32_e32 v1, v1, v2
	v_mul_hi_u32 v1, v5, v1
	v_mul_lo_u32 v2, v1, s6
	v_add_u32_e32 v4, 1, v1
	v_sub_u32_e32 v2, v5, v2
	v_subrev_u32_e32 v7, s6, v2
	v_cmp_le_u32_e32 vcc, s6, v2
	v_cndmask_b32_e32 v2, v2, v7, vcc
	v_cndmask_b32_e32 v1, v1, v4, vcc
	v_add_u32_e32 v4, 1, v1
	v_cmp_le_u32_e32 vcc, s6, v2
	v_cndmask_b32_e32 v1, v1, v4, vcc
	v_mov_b32_e32 v2, 0
.LBB0_4:
	s_or_b64 exec, exec, s[0:1]
	v_mad_u64_u32 v[7:8], s[0:1], v5, s8, 0
	v_and_b32_e32 v28, 15, v0
	v_or_b32_e32 v27, 16, v28
	v_mov_b32_e32 v4, v8
	v_mad_u64_u32 v[8:9], s[0:1], v5, s9, v[4:5]
	v_sub_co_u32_e32 v7, vcc, v3, v7
	v_mov_b32_e32 v4, v8
	v_subb_co_u32_e32 v8, vcc, 0, v4, vcc
	v_mad_u64_u32 v[3:4], s[0:1], v1, s6, 0
	v_mul_lo_u32 v11, s11, v7
	v_mul_lo_u32 v12, s10, v8
	v_mad_u64_u32 v[9:10], s[0:1], v1, s7, v[4:5]
	v_mad_u64_u32 v[7:8], s[0:1], s10, v7, 0
	s_load_dwordx4 s[8:11], s[2:3], 0x10
	v_mov_b32_e32 v4, v9
	v_sub_co_u32_e32 v5, vcc, v5, v3
	v_add3_u32 v8, v8, v12, v11
	v_subb_co_u32_e32 v6, vcc, v6, v4, vcc
	s_waitcnt lgkmcnt(0)
	v_mad_u64_u32 v[3:4], s[0:1], s8, v5, v[7:8]
	v_mul_lo_u32 v6, s8, v6
	v_mul_lo_u32 v5, s9, v5
	v_or_b32_e32 v29, 32, v28
	v_or_b32_e32 v32, 48, v28
	v_add3_u32 v4, v5, v4, v6
	v_mad_u64_u32 v[3:4], s[0:1], s10, v1, v[3:4]
	s_load_dwordx2 s[2:3], s[4:5], 0x48
	s_load_dwordx2 s[0:1], s[4:5], 0x18
	s_load_dwordx2 s[6:7], s[4:5], 0x0
	v_mad_u64_u32 v[4:5], s[4:5], s11, v1, v[4:5]
	s_waitcnt lgkmcnt(0)
	v_cmp_gt_u64_e32 vcc, s[0:1], v[1:2]
	v_cmp_le_u64_e64 s[0:1], s[0:1], v[1:2]
	s_and_saveexec_b64 s[4:5], s[0:1]
	s_xor_b64 s[0:1], exec, s[4:5]
; %bb.5:
	v_or_b32_e32 v27, 16, v28
	v_or_b32_e32 v29, 32, v28
	;; [unrolled: 1-line block ×3, first 2 shown]
; %bb.6:
	s_or_saveexec_b64 s[4:5], s[0:1]
	v_lshlrev_b64 v[0:1], 3, v[3:4]
	v_lshlrev_b32_e32 v26, 3, v28
                                        ; implicit-def: $vgpr5
                                        ; implicit-def: $vgpr23
                                        ; implicit-def: $vgpr25
                                        ; implicit-def: $vgpr17
                                        ; implicit-def: $vgpr21
                                        ; implicit-def: $vgpr3
                                        ; implicit-def: $vgpr15
                                        ; implicit-def: $vgpr7
                                        ; implicit-def: $vgpr11
                                        ; implicit-def: $vgpr19
                                        ; implicit-def: $vgpr13
                                        ; implicit-def: $vgpr9
	s_xor_b64 exec, exec, s[4:5]
	s_cbranch_execz .LBB0_8
; %bb.7:
	v_mov_b32_e32 v2, s3
	v_add_co_u32_e64 v3, s[0:1], s2, v0
	v_addc_co_u32_e64 v2, s[0:1], v2, v1, s[0:1]
	v_add_co_u32_e64 v33, s[0:1], v3, v26
	v_addc_co_u32_e64 v34, s[0:1], 0, v2, s[0:1]
	global_load_dwordx2 v[4:5], v[33:34], off
	global_load_dwordx2 v[8:9], v[33:34], off offset:128
	global_load_dwordx2 v[2:3], v[33:34], off offset:256
	;; [unrolled: 1-line block ×11, first 2 shown]
.LBB0_8:
	s_or_b64 exec, exec, s[4:5]
	s_waitcnt vmcnt(3)
	v_add_f32_e32 v33, v22, v24
	v_add_f32_e32 v31, v4, v22
	v_fmac_f32_e32 v4, -0.5, v33
	v_sub_f32_e32 v40, v22, v24
	v_mul_u32_u24_e32 v22, 0xc0, v30
	v_sub_f32_e32 v33, v23, v25
	v_mov_b32_e32 v34, v4
	v_lshlrev_b32_e32 v22, 2, v22
	v_fmac_f32_e32 v34, 0xbf5db3d7, v33
	v_fmac_f32_e32 v4, 0x3f5db3d7, v33
	v_add_f32_e32 v33, v5, v23
	v_add_f32_e32 v24, v31, v24
	v_add_u32_e32 v31, 0, v22
	v_add_f32_e32 v23, v23, v25
	v_add_f32_e32 v41, v33, v25
	v_mad_u32_u24 v42, v28, 12, v31
	s_waitcnt vmcnt(2)
	v_add_f32_e32 v25, v16, v20
	ds_write2_b32 v42, v24, v34 offset1:1
	v_add_f32_e32 v24, v16, v8
	v_fmac_f32_e32 v8, -0.5, v25
	v_sub_f32_e32 v25, v17, v21
	v_mov_b32_e32 v30, v8
	v_add_f32_e32 v24, v20, v24
	v_fmac_f32_e32 v30, 0xbf5db3d7, v25
	ds_write_b32 v42, v4 offset:8
	v_mad_i32_i24 v4, v27, 12, v31
	v_fmac_f32_e32 v8, 0x3f5db3d7, v25
	s_waitcnt vmcnt(1)
	v_add_f32_e32 v25, v14, v12
	ds_write2_b32 v4, v24, v30 offset1:1
	v_add_f32_e32 v24, v2, v12
	v_fmac_f32_e32 v2, -0.5, v25
	v_sub_f32_e32 v25, v13, v15
	v_mov_b32_e32 v30, v2
	v_add_f32_e32 v24, v14, v24
	v_fmac_f32_e32 v30, 0xbf5db3d7, v25
	ds_write_b32 v4, v8 offset:8
	v_mad_i32_i24 v8, v29, 12, v31
	v_fmac_f32_e32 v2, 0x3f5db3d7, v25
	s_waitcnt vmcnt(0)
	v_add_f32_e32 v25, v10, v18
	ds_write2_b32 v8, v24, v30 offset1:1
	v_add_f32_e32 v24, v6, v10
	v_fmac_f32_e32 v6, -0.5, v25
	v_sub_f32_e32 v25, v11, v19
	v_mov_b32_e32 v30, v6
	ds_write_b32 v8, v2 offset:8
	v_mad_i32_i24 v2, v32, 12, v31
	v_fmac_f32_e32 v6, 0x3f5db3d7, v25
	v_add_f32_e32 v24, v24, v18
	v_fmac_f32_e32 v30, 0xbf5db3d7, v25
	ds_write_b32 v2, v6 offset:8
	v_lshlrev_b32_e32 v6, 2, v28
	ds_write2_b32 v2, v24, v30 offset1:1
	v_fmac_f32_e32 v5, -0.5, v23
	v_add3_u32 v24, 0, v6, v22
	v_add_u32_e32 v23, v31, v6
	v_lshlrev_b32_e32 v6, 3, v32
	v_sub_u32_e32 v22, v2, v6
	v_lshlrev_b32_e32 v6, 3, v27
	v_sub_u32_e32 v25, v4, v6
	v_lshlrev_b32_e32 v6, 3, v29
	v_mov_b32_e32 v43, v5
	v_sub_u32_e32 v30, v8, v6
	v_fmac_f32_e32 v5, 0xbf5db3d7, v40
	v_add_f32_e32 v6, v17, v21
	s_waitcnt lgkmcnt(0)
	s_barrier
	ds_read_b32 v44, v23
	ds_read_b32 v45, v22
	;; [unrolled: 1-line block ×4, first 2 shown]
	ds_read2_b32 v[32:33], v24 offset0:96 offset1:112
	ds_read2_b32 v[34:35], v24 offset0:128 offset1:144
	ds_read2_b32 v[36:37], v24 offset0:64 offset1:80
	ds_read2_b32 v[38:39], v24 offset0:160 offset1:176
	s_waitcnt lgkmcnt(0)
	s_barrier
	ds_write_b32 v42, v5 offset:8
	v_add_f32_e32 v5, v17, v9
	v_fmac_f32_e32 v9, -0.5, v6
	v_sub_f32_e32 v16, v16, v20
	v_mov_b32_e32 v6, v9
	v_fmac_f32_e32 v43, 0x3f5db3d7, v40
	v_add_f32_e32 v5, v21, v5
	v_fmac_f32_e32 v6, 0x3f5db3d7, v16
	ds_write2_b32 v42, v41, v43 offset1:1
	ds_write2_b32 v4, v5, v6 offset1:1
	v_fmac_f32_e32 v9, 0xbf5db3d7, v16
	v_add_f32_e32 v5, v15, v13
	ds_write_b32 v4, v9 offset:8
	v_add_f32_e32 v4, v3, v13
	v_add_f32_e32 v9, v7, v11
	v_add_f32_e32 v11, v11, v19
	v_fmac_f32_e32 v3, -0.5, v5
	v_sub_f32_e32 v6, v12, v14
	v_mov_b32_e32 v5, v3
	v_fmac_f32_e32 v7, -0.5, v11
	v_add_f32_e32 v4, v15, v4
	v_sub_f32_e32 v10, v10, v18
	v_fmac_f32_e32 v5, 0x3f5db3d7, v6
	v_fmac_f32_e32 v3, 0xbf5db3d7, v6
	v_mov_b32_e32 v6, v7
	v_add_f32_e32 v9, v9, v19
	v_fmac_f32_e32 v6, 0x3f5db3d7, v10
	v_fmac_f32_e32 v7, 0xbf5db3d7, v10
	ds_write2_b32 v8, v4, v5 offset1:1
	ds_write_b32 v8, v3 offset:8
	ds_write2_b32 v2, v9, v6 offset1:1
	ds_write_b32 v2, v7 offset:8
	v_mul_lo_u16_e32 v15, 0x56, v28
	v_mov_b32_e32 v4, 3
	v_mul_lo_u16_sdwa v2, v15, v4 dst_sel:DWORD dst_unused:UNUSED_PAD src0_sel:BYTE_1 src1_sel:DWORD
	v_sub_u16_e32 v16, v28, v2
	v_mul_lo_u16_e32 v2, 3, v16
	v_lshlrev_b32_sdwa v9, v4, v2 dst_sel:DWORD dst_unused:UNUSED_PAD src0_sel:DWORD src1_sel:BYTE_0
	s_waitcnt lgkmcnt(0)
	s_barrier
	global_load_dwordx4 v[5:8], v9, s[6:7]
	ds_read_b32 v11, v22
	ds_read2_b32 v[2:3], v24 offset0:96 offset1:112
	s_movk_i32 s0, 0xab
	v_mul_lo_u16_sdwa v41, v27, s0 dst_sel:DWORD dst_unused:UNUSED_PAD src0_sel:BYTE_0 src1_sel:DWORD
	v_lshrrev_b16_e32 v42, 9, v41
	global_load_dwordx2 v[9:10], v9, s[6:7] offset:16
	ds_read_b32 v17, v25
	ds_read_b32 v18, v30
	;; [unrolled: 1-line block ×3, first 2 shown]
	v_mul_lo_u16_sdwa v49, v29, s0 dst_sel:DWORD dst_unused:UNUSED_PAD src0_sel:BYTE_0 src1_sel:DWORD
	v_lshrrev_b16_e32 v50, 9, v49
	v_cmp_gt_u32_e64 s[0:1], 12, v28
	v_lshrrev_b16_e32 v41, 11, v41
	s_waitcnt vmcnt(1) lgkmcnt(4)
	v_mul_f32_e32 v20, v11, v6
	v_mul_f32_e32 v6, v45, v6
	v_fmac_f32_e32 v20, v45, v5
	v_fma_f32 v21, v11, v5, -v6
	s_waitcnt lgkmcnt(3)
	v_mul_f32_e32 v40, v2, v8
	v_mul_f32_e32 v5, v32, v8
	v_fmac_f32_e32 v40, v32, v7
	v_fma_f32 v32, v2, v7, -v5
	v_mul_lo_u16_e32 v2, 3, v42
	v_sub_u16_e32 v43, v27, v2
	v_mul_lo_u16_e32 v2, 3, v43
	v_lshlrev_b32_sdwa v2, v4, v2 dst_sel:DWORD dst_unused:UNUSED_PAD src0_sel:DWORD src1_sel:BYTE_0
	global_load_dwordx4 v[5:8], v2, s[6:7]
	global_load_dwordx2 v[11:12], v2, s[6:7] offset:16
	s_waitcnt vmcnt(1)
	v_mul_f32_e32 v45, v3, v8
	v_mul_f32_e32 v2, v33, v8
	v_fmac_f32_e32 v45, v33, v7
	v_fma_f32 v33, v3, v7, -v2
	ds_read2_b32 v[2:3], v24 offset0:64 offset1:80
	s_waitcnt lgkmcnt(0)
	v_mul_f32_e32 v48, v2, v6
	v_mul_f32_e32 v6, v36, v6
	v_fmac_f32_e32 v48, v36, v5
	v_fma_f32 v36, v2, v5, -v6
	v_mul_lo_u16_e32 v2, 3, v50
	v_sub_u16_e32 v51, v29, v2
	v_mul_lo_u16_e32 v2, 3, v51
	v_lshlrev_b32_sdwa v2, v4, v2 dst_sel:DWORD dst_unused:UNUSED_PAD src0_sel:DWORD src1_sel:BYTE_0
	global_load_dwordx2 v[13:14], v2, s[6:7] offset:16
	global_load_dwordx4 v[5:8], v2, s[6:7]
	s_waitcnt vmcnt(0)
	v_mul_f32_e32 v52, v3, v6
	v_mul_f32_e32 v2, v37, v6
	v_fmac_f32_e32 v52, v37, v5
	v_fma_f32 v5, v3, v5, -v2
	ds_read2_b32 v[2:3], v24 offset0:128 offset1:144
	s_waitcnt lgkmcnt(0)
	v_mul_f32_e32 v6, v2, v8
	v_mul_f32_e32 v8, v34, v8
	v_fmac_f32_e32 v6, v34, v7
	v_fma_f32 v7, v2, v7, -v8
	v_mul_f32_e32 v8, v3, v10
	v_mul_f32_e32 v2, v35, v10
	v_fmac_f32_e32 v8, v35, v9
	v_fma_f32 v9, v3, v9, -v2
	ds_read2_b32 v[2:3], v24 offset0:160 offset1:176
	v_sub_f32_e32 v8, v20, v8
	v_sub_f32_e32 v9, v21, v9
	s_waitcnt lgkmcnt(0)
	s_barrier
	v_mul_f32_e32 v10, v2, v12
	v_mul_f32_e32 v12, v38, v12
	v_fma_f32 v2, v2, v11, -v12
	v_mul_f32_e32 v12, v39, v14
	v_fmac_f32_e32 v10, v38, v11
	v_mul_f32_e32 v11, v3, v14
	v_fma_f32 v3, v3, v13, -v12
	v_mov_b32_e32 v12, 12
	v_fmac_f32_e32 v11, v39, v13
	v_mul_lo_u16_sdwa v12, v15, v12 dst_sel:DWORD dst_unused:UNUSED_PAD src0_sel:BYTE_1 src1_sel:DWORD
	v_sub_f32_e32 v13, v44, v40
	v_or_b32_e32 v12, v12, v16
	v_fma_f32 v14, v44, 2.0, -v13
	v_fma_f32 v15, v20, 2.0, -v8
	v_sub_f32_e32 v15, v14, v15
	v_add_f32_e32 v16, v13, v9
	v_and_b32_e32 v12, 0xff, v12
	v_fma_f32 v14, v14, 2.0, -v15
	v_fma_f32 v13, v13, 2.0, -v16
	v_lshl_add_u32 v20, v12, 2, v31
	ds_write2_b32 v20, v14, v13 offset1:3
	ds_write2_b32 v20, v15, v16 offset0:6 offset1:9
	v_mul_lo_u16_e32 v12, 12, v42
	v_sub_f32_e32 v13, v46, v45
	v_sub_f32_e32 v34, v48, v10
	v_or_b32_e32 v12, v12, v43
	v_fma_f32 v14, v46, 2.0, -v13
	v_sub_f32_e32 v2, v36, v2
	v_fma_f32 v10, v48, 2.0, -v34
	v_sub_f32_e32 v10, v14, v10
	v_add_f32_e32 v15, v13, v2
	v_and_b32_e32 v12, 0xff, v12
	v_fma_f32 v14, v14, 2.0, -v10
	v_fma_f32 v13, v13, 2.0, -v15
	v_lshl_add_u32 v35, v12, 2, v31
	ds_write2_b32 v35, v14, v13 offset1:3
	ds_write2_b32 v35, v10, v15 offset0:6 offset1:9
	v_mul_lo_u16_e32 v10, 12, v50
	v_sub_f32_e32 v6, v47, v6
	v_sub_f32_e32 v37, v52, v11
	v_or_b32_e32 v10, v10, v51
	v_fma_f32 v12, v47, 2.0, -v6
	v_sub_f32_e32 v3, v5, v3
	v_fma_f32 v11, v52, 2.0, -v37
	v_sub_f32_e32 v11, v12, v11
	v_add_f32_e32 v13, v6, v3
	v_and_b32_e32 v10, 0xff, v10
	v_fma_f32 v12, v12, 2.0, -v11
	v_fma_f32 v6, v6, 2.0, -v13
	v_lshl_add_u32 v38, v10, 2, v31
	ds_write2_b32 v38, v12, v6 offset1:3
	v_sub_f32_e32 v6, v19, v32
	v_fma_f32 v10, v19, 2.0, -v6
	v_fma_f32 v9, v21, 2.0, -v9
	v_sub_f32_e32 v19, v10, v9
	v_sub_f32_e32 v8, v6, v8
	v_fma_f32 v21, v10, 2.0, -v19
	v_fma_f32 v6, v6, 2.0, -v8
	ds_write2_b32 v38, v11, v13 offset0:6 offset1:9
	s_waitcnt lgkmcnt(0)
	s_barrier
	ds_read_b32 v39, v23
	ds_read_b32 v32, v22
	;; [unrolled: 1-line block ×4, first 2 shown]
	ds_read2_b32 v[9:10], v24 offset0:96 offset1:112
	ds_read2_b32 v[11:12], v24 offset0:128 offset1:144
	;; [unrolled: 1-line block ×4, first 2 shown]
	s_waitcnt lgkmcnt(0)
	s_barrier
	ds_write2_b32 v20, v21, v6 offset1:3
	ds_write2_b32 v20, v19, v8 offset0:6 offset1:9
	v_sub_f32_e32 v6, v17, v33
	v_fma_f32 v2, v36, 2.0, -v2
	v_fma_f32 v8, v17, 2.0, -v6
	v_sub_f32_e32 v2, v8, v2
	v_sub_f32_e32 v17, v6, v34
	v_fma_f32 v8, v8, 2.0, -v2
	v_fma_f32 v6, v6, 2.0, -v17
	;; [unrolled: 1-line block ×3, first 2 shown]
	v_sub_f32_e32 v5, v18, v7
	ds_write2_b32 v35, v8, v6 offset1:3
	v_fma_f32 v6, v18, 2.0, -v5
	v_sub_f32_e32 v3, v6, v3
	v_sub_f32_e32 v7, v5, v37
	v_fma_f32 v6, v6, 2.0, -v3
	v_fma_f32 v5, v5, 2.0, -v7
	ds_write2_b32 v35, v2, v17 offset0:6 offset1:9
	ds_write2_b32 v38, v6, v5 offset1:3
	ds_write2_b32 v38, v3, v7 offset0:6 offset1:9
	v_add_u32_e32 v2, -12, v28
	v_cndmask_b32_e64 v21, v2, v28, s[0:1]
	v_mul_i32_i24_e32 v2, 3, v21
	v_mov_b32_e32 v3, 0
	v_lshlrev_b64 v[5:6], 3, v[2:3]
	v_mov_b32_e32 v2, s7
	v_add_co_u32_e64 v17, s[0:1], s6, v5
	v_addc_co_u32_e64 v18, s[0:1], v2, v6, s[0:1]
	s_waitcnt lgkmcnt(0)
	s_barrier
	global_load_dwordx4 v[5:8], v[17:18], off offset:72
	ds_read_b32 v2, v22
	ds_read2_b32 v[19:20], v24 offset0:96 offset1:112
	global_load_dwordx2 v[17:18], v[17:18], off offset:88
	ds_read_b32 v34, v25
	ds_read_b32 v35, v30
	;; [unrolled: 1-line block ×3, first 2 shown]
	v_cmp_lt_u32_e64 s[0:1], 11, v28
	s_waitcnt vmcnt(1) lgkmcnt(4)
	v_mul_f32_e32 v37, v2, v6
	v_mul_f32_e32 v6, v32, v6
	v_fmac_f32_e32 v37, v32, v5
	v_fma_f32 v2, v2, v5, -v6
	v_mul_f32_e32 v5, v9, v8
	s_waitcnt lgkmcnt(3)
	v_mul_f32_e32 v38, v19, v8
	v_fma_f32 v19, v19, v7, -v5
	v_mul_lo_u16_e32 v5, 12, v41
	v_sub_u16_e32 v43, v27, v5
	v_mul_lo_u16_e32 v5, 3, v43
	v_fmac_f32_e32 v38, v9, v7
	v_lshlrev_b32_sdwa v9, v4, v5 dst_sel:DWORD dst_unused:UNUSED_PAD src0_sel:DWORD src1_sel:BYTE_0
	global_load_dwordx4 v[5:8], v9, s[6:7] offset:72
	global_load_dwordx2 v[32:33], v9, s[6:7] offset:88
	s_waitcnt vmcnt(1)
	v_mul_f32_e32 v44, v20, v8
	v_mul_f32_e32 v8, v10, v8
	v_fmac_f32_e32 v44, v10, v7
	v_fma_f32 v20, v20, v7, -v8
	ds_read2_b32 v[7:8], v24 offset0:64 offset1:80
	s_waitcnt lgkmcnt(0)
	v_mul_f32_e32 v45, v7, v6
	v_fmac_f32_e32 v45, v13, v5
	v_mul_f32_e32 v6, v13, v6
	v_lshrrev_b16_e32 v13, 11, v49
	v_fma_f32 v46, v7, v5, -v6
	v_mul_lo_u16_e32 v5, 12, v13
	v_sub_u16_e32 v47, v29, v5
	v_mul_lo_u16_e32 v5, 3, v47
	v_lshlrev_b32_sdwa v48, v4, v5 dst_sel:DWORD dst_unused:UNUSED_PAD src0_sel:DWORD src1_sel:BYTE_0
	global_load_dwordx2 v[9:10], v48, s[6:7] offset:88
	global_load_dwordx4 v[4:7], v48, s[6:7] offset:72
	s_waitcnt vmcnt(0)
	v_mul_f32_e32 v48, v8, v5
	v_mul_f32_e32 v5, v14, v5
	v_fmac_f32_e32 v48, v14, v4
	v_fma_f32 v49, v8, v4, -v5
	ds_read2_b32 v[4:5], v24 offset0:128 offset1:144
	s_waitcnt lgkmcnt(0)
	v_mul_f32_e32 v8, v4, v7
	v_mul_f32_e32 v7, v11, v7
	v_fma_f32 v50, v4, v6, -v7
	v_mul_f32_e32 v4, v12, v18
	v_fmac_f32_e32 v8, v11, v6
	v_mul_f32_e32 v6, v5, v18
	v_fma_f32 v7, v5, v17, -v4
	ds_read2_b32 v[4:5], v24 offset0:160 offset1:176
	v_fmac_f32_e32 v6, v12, v17
	v_mul_f32_e32 v12, v15, v33
	v_sub_f32_e32 v6, v37, v6
	v_sub_f32_e32 v7, v2, v7
	s_waitcnt lgkmcnt(0)
	v_mul_f32_e32 v11, v4, v33
	v_fma_f32 v4, v4, v32, -v12
	v_mul_f32_e32 v12, v5, v10
	v_mul_f32_e32 v10, v16, v10
	v_fma_f32 v5, v5, v9, -v10
	v_sub_f32_e32 v10, v39, v38
	v_fmac_f32_e32 v11, v15, v32
	v_fmac_f32_e32 v12, v16, v9
	v_cndmask_b32_e64 v9, 0, 48, s[0:1]
	v_fma_f32 v14, v39, 2.0, -v10
	v_fma_f32 v15, v37, 2.0, -v6
	v_or_b32_e32 v9, v9, v21
	v_sub_f32_e32 v15, v14, v15
	v_add_f32_e32 v16, v10, v7
	v_fma_f32 v14, v14, 2.0, -v15
	v_fma_f32 v10, v10, 2.0, -v16
	v_lshl_add_u32 v17, v9, 2, v31
	s_barrier
	ds_write2_b32 v17, v14, v10 offset1:12
	ds_write2_b32 v17, v15, v16 offset0:24 offset1:36
	v_sub_f32_e32 v10, v40, v44
	v_sub_f32_e32 v16, v45, v11
	v_mul_lo_u16_e32 v9, 48, v41
	v_fma_f32 v14, v40, 2.0, -v10
	v_sub_f32_e32 v18, v46, v4
	v_fma_f32 v4, v45, 2.0, -v16
	v_or_b32_e32 v9, v9, v43
	v_sub_f32_e32 v4, v14, v4
	v_fma_f32 v11, v14, 2.0, -v4
	v_add_f32_e32 v14, v10, v18
	v_and_b32_e32 v9, 0xff, v9
	v_fma_f32 v10, v10, 2.0, -v14
	v_lshl_add_u32 v21, v9, 2, v31
	ds_write2_b32 v21, v11, v10 offset1:12
	ds_write2_b32 v21, v4, v14 offset0:24 offset1:36
	v_sub_f32_e32 v4, v36, v19
	v_fma_f32 v2, v2, 2.0, -v7
	v_fma_f32 v7, v36, 2.0, -v4
	v_sub_f32_e32 v2, v7, v2
	v_sub_f32_e32 v32, v4, v6
	v_fma_f32 v19, v7, 2.0, -v2
	v_fma_f32 v33, v4, 2.0, -v32
	v_sub_f32_e32 v4, v42, v8
	v_sub_f32_e32 v36, v48, v12
	v_mul_lo_u16_e32 v7, 48, v13
	v_fma_f32 v6, v42, 2.0, -v4
	v_sub_f32_e32 v37, v49, v5
	v_fma_f32 v5, v48, 2.0, -v36
	v_or_b32_e32 v7, v7, v47
	v_sub_f32_e32 v5, v6, v5
	v_add_f32_e32 v8, v4, v37
	v_and_b32_e32 v7, 0xff, v7
	v_fma_f32 v6, v6, 2.0, -v5
	v_fma_f32 v4, v4, 2.0, -v8
	v_lshl_add_u32 v31, v7, 2, v31
	ds_write2_b32 v31, v6, v4 offset1:12
	ds_write2_b32 v31, v5, v8 offset0:24 offset1:36
	s_waitcnt lgkmcnt(0)
	s_barrier
	ds_read2_b32 v[6:7], v24 offset0:96 offset1:112
	ds_read_b32 v12, v23
	ds_read_b32 v13, v22
	;; [unrolled: 1-line block ×4, first 2 shown]
	ds_read2_b32 v[4:5], v24 offset0:128 offset1:144
	ds_read2_b32 v[10:11], v24 offset0:64 offset1:80
	;; [unrolled: 1-line block ×3, first 2 shown]
	s_waitcnt lgkmcnt(0)
	s_barrier
	ds_write2_b32 v17, v19, v33 offset1:12
	ds_write2_b32 v17, v2, v32 offset0:24 offset1:36
	v_fma_f32 v2, v46, 2.0, -v18
	v_sub_f32_e32 v18, v34, v20
	v_fma_f32 v19, v34, 2.0, -v18
	v_sub_f32_e32 v20, v35, v50
	;; [unrolled: 2-line block ×3, first 2 shown]
	v_sub_f32_e32 v16, v18, v16
	v_fma_f32 v32, v35, 2.0, -v20
	v_fma_f32 v19, v19, 2.0, -v2
	;; [unrolled: 1-line block ×3, first 2 shown]
	v_sub_f32_e32 v17, v32, v17
	v_sub_f32_e32 v33, v20, v36
	v_fma_f32 v32, v32, 2.0, -v17
	v_fma_f32 v20, v20, 2.0, -v33
	ds_write2_b32 v21, v19, v18 offset1:12
	ds_write2_b32 v21, v2, v16 offset0:24 offset1:36
	ds_write2_b32 v31, v32, v20 offset1:12
	ds_write2_b32 v31, v17, v33 offset0:24 offset1:36
	s_waitcnt lgkmcnt(0)
	s_barrier
	s_and_saveexec_b64 s[0:1], vcc
	s_cbranch_execz .LBB0_10
; %bb.9:
	v_mul_i32_i24_e32 v2, 3, v29
	v_lshlrev_b64 v[20:21], 3, v[2:3]
	v_mul_u32_u24_e32 v2, 3, v28
	v_lshlrev_b32_e32 v2, 3, v2
	global_load_dwordx4 v[16:19], v2, s[6:7] offset:360
	global_load_dwordx2 v[28:29], v2, s[6:7] offset:376
	v_mul_i32_i24_e32 v2, 3, v27
	v_mov_b32_e32 v35, s7
	v_add_co_u32_e32 v20, vcc, s6, v20
	v_lshlrev_b64 v[2:3], 3, v[2:3]
	v_addc_co_u32_e32 v21, vcc, v35, v21, vcc
	v_add_co_u32_e32 v2, vcc, s6, v2
	global_load_dwordx4 v[31:34], v[20:21], off offset:360
	v_addc_co_u32_e32 v3, vcc, v35, v3, vcc
	global_load_dwordx2 v[20:21], v[20:21], off offset:376
	s_nop 0
	global_load_dwordx4 v[35:38], v[2:3], off offset:360
	global_load_dwordx2 v[39:40], v[2:3], off offset:376
	ds_read2_b32 v[2:3], v24 offset0:128 offset1:144
	ds_read2_b32 v[41:42], v24 offset0:64 offset1:80
	;; [unrolled: 1-line block ×4, first 2 shown]
	ds_read_b32 v27, v23
	ds_read_b32 v23, v30
	;; [unrolled: 1-line block ×4, first 2 shown]
	v_add_co_u32_e32 v0, vcc, s2, v0
	s_waitcnt vmcnt(5)
	v_mul_f32_e32 v22, v6, v19
	s_waitcnt lgkmcnt(5)
	v_mul_f32_e32 v47, v43, v19
	v_fma_f32 v43, v43, v18, -v22
	v_fmac_f32_e32 v47, v6, v18
	v_mul_f32_e32 v48, v13, v16
	s_waitcnt vmcnt(4)
	v_mul_f32_e32 v49, v5, v28
	s_waitcnt lgkmcnt(0)
	v_fmac_f32_e32 v48, v30, v17
	v_fmac_f32_e32 v49, v3, v29
	v_mul_f32_e32 v5, v5, v29
	v_fma_f32 v3, v3, v28, -v5
	s_waitcnt vmcnt(3)
	v_mul_f32_e32 v6, v4, v34
	v_mul_f32_e32 v18, v11, v31
	;; [unrolled: 1-line block ×4, first 2 shown]
	s_waitcnt vmcnt(2)
	v_mul_f32_e32 v22, v9, v20
	v_mul_f32_e32 v9, v9, v21
	v_fma_f32 v2, v2, v33, -v6
	v_fmac_f32_e32 v18, v42, v32
	v_fmac_f32_e32 v19, v4, v33
	v_fma_f32 v4, v42, v31, -v11
	s_waitcnt vmcnt(1)
	v_mul_f32_e32 v25, v10, v35
	v_mul_f32_e32 v6, v10, v36
	;; [unrolled: 1-line block ×3, first 2 shown]
	v_fmac_f32_e32 v22, v46, v21
	v_fma_f32 v9, v46, v20, -v9
	s_waitcnt vmcnt(0)
	v_mul_f32_e32 v20, v8, v39
	v_mul_f32_e32 v8, v8, v40
	;; [unrolled: 1-line block ×3, first 2 shown]
	v_fma_f32 v21, v41, v35, -v6
	v_fma_f32 v10, v44, v37, -v10
	v_fma_f32 v8, v45, v39, -v8
	v_sub_f32_e32 v2, v23, v2
	v_sub_f32_e32 v22, v18, v22
	v_sub_f32_e32 v19, v15, v19
	v_sub_f32_e32 v6, v4, v9
	v_fmac_f32_e32 v25, v41, v36
	v_fmac_f32_e32 v11, v7, v37
	;; [unrolled: 1-line block ×3, first 2 shown]
	v_fma_f32 v4, v4, 2.0, -v6
	v_sub_f32_e32 v7, v2, v22
	v_fma_f32 v23, v23, 2.0, -v2
	v_fma_f32 v31, v15, 2.0, -v19
	;; [unrolled: 1-line block ×3, first 2 shown]
	v_sub_f32_e32 v22, v24, v10
	v_sub_f32_e32 v18, v21, v8
	v_add_f32_e32 v6, v19, v6
	v_sub_f32_e32 v20, v25, v20
	v_sub_f32_e32 v32, v14, v11
	v_fma_f32 v9, v2, 2.0, -v7
	v_sub_f32_e32 v11, v23, v4
	v_fma_f32 v2, v21, 2.0, -v18
	v_fma_f32 v4, v24, 2.0, -v22
	;; [unrolled: 1-line block ×3, first 2 shown]
	v_sub_f32_e32 v10, v31, v15
	v_sub_f32_e32 v19, v22, v20
	v_fma_f32 v24, v14, 2.0, -v32
	v_fma_f32 v25, v25, 2.0, -v20
	;; [unrolled: 1-line block ×3, first 2 shown]
	v_sub_f32_e32 v23, v4, v2
	v_fma_f32 v21, v22, 2.0, -v19
	v_sub_f32_e32 v22, v24, v25
	v_fma_f32 v25, v4, 2.0, -v23
	v_mul_f32_e32 v4, v13, v17
	v_fma_f32 v14, v31, 2.0, -v10
	v_sub_f32_e32 v2, v27, v43
	v_sub_f32_e32 v31, v48, v49
	v_fma_f32 v13, v30, v16, -v4
	v_sub_f32_e32 v4, v2, v31
	v_sub_f32_e32 v30, v12, v47
	;; [unrolled: 1-line block ×3, first 2 shown]
	v_fma_f32 v17, v2, 2.0, -v4
	v_add_f32_e32 v3, v30, v5
	v_fma_f32 v2, v27, 2.0, -v2
	v_fma_f32 v5, v13, 2.0, -v5
	v_sub_f32_e32 v13, v2, v5
	v_fma_f32 v28, v2, 2.0, -v13
	v_fma_f32 v2, v12, 2.0, -v30
	;; [unrolled: 1-line block ×3, first 2 shown]
	v_sub_f32_e32 v12, v2, v5
	v_fma_f32 v27, v2, 2.0, -v12
	v_mov_b32_e32 v2, s3
	v_addc_co_u32_e32 v1, vcc, v2, v1, vcc
	v_add_co_u32_e32 v0, vcc, v0, v26
	v_add_f32_e32 v18, v32, v18
	v_addc_co_u32_e32 v1, vcc, 0, v1, vcc
	v_fma_f32 v20, v32, 2.0, -v18
	v_fma_f32 v24, v24, 2.0, -v22
	;; [unrolled: 1-line block ×3, first 2 shown]
	global_store_dwordx2 v[0:1], v[27:28], off
	global_store_dwordx2 v[0:1], v[16:17], off offset:384
	global_store_dwordx2 v[0:1], v[12:13], off offset:768
	;; [unrolled: 1-line block ×11, first 2 shown]
.LBB0_10:
	s_endpgm
	.section	.rodata,"a",@progbits
	.p2align	6, 0x0
	.amdhsa_kernel fft_rtc_back_len192_factors_3_4_4_4_wgs_256_tpt_16_halfLds_dim3_sp_ip_CI_unitstride_sbrr_dirReg
		.amdhsa_group_segment_fixed_size 0
		.amdhsa_private_segment_fixed_size 0
		.amdhsa_kernarg_size 80
		.amdhsa_user_sgpr_count 6
		.amdhsa_user_sgpr_private_segment_buffer 1
		.amdhsa_user_sgpr_dispatch_ptr 0
		.amdhsa_user_sgpr_queue_ptr 0
		.amdhsa_user_sgpr_kernarg_segment_ptr 1
		.amdhsa_user_sgpr_dispatch_id 0
		.amdhsa_user_sgpr_flat_scratch_init 0
		.amdhsa_user_sgpr_private_segment_size 0
		.amdhsa_uses_dynamic_stack 0
		.amdhsa_system_sgpr_private_segment_wavefront_offset 0
		.amdhsa_system_sgpr_workgroup_id_x 1
		.amdhsa_system_sgpr_workgroup_id_y 0
		.amdhsa_system_sgpr_workgroup_id_z 0
		.amdhsa_system_sgpr_workgroup_info 0
		.amdhsa_system_vgpr_workitem_id 0
		.amdhsa_next_free_vgpr 53
		.amdhsa_next_free_sgpr 13
		.amdhsa_reserve_vcc 1
		.amdhsa_reserve_flat_scratch 0
		.amdhsa_float_round_mode_32 0
		.amdhsa_float_round_mode_16_64 0
		.amdhsa_float_denorm_mode_32 3
		.amdhsa_float_denorm_mode_16_64 3
		.amdhsa_dx10_clamp 1
		.amdhsa_ieee_mode 1
		.amdhsa_fp16_overflow 0
		.amdhsa_exception_fp_ieee_invalid_op 0
		.amdhsa_exception_fp_denorm_src 0
		.amdhsa_exception_fp_ieee_div_zero 0
		.amdhsa_exception_fp_ieee_overflow 0
		.amdhsa_exception_fp_ieee_underflow 0
		.amdhsa_exception_fp_ieee_inexact 0
		.amdhsa_exception_int_div_zero 0
	.end_amdhsa_kernel
	.text
.Lfunc_end0:
	.size	fft_rtc_back_len192_factors_3_4_4_4_wgs_256_tpt_16_halfLds_dim3_sp_ip_CI_unitstride_sbrr_dirReg, .Lfunc_end0-fft_rtc_back_len192_factors_3_4_4_4_wgs_256_tpt_16_halfLds_dim3_sp_ip_CI_unitstride_sbrr_dirReg
                                        ; -- End function
	.section	.AMDGPU.csdata,"",@progbits
; Kernel info:
; codeLenInByte = 4088
; NumSgprs: 17
; NumVgprs: 53
; ScratchSize: 0
; MemoryBound: 0
; FloatMode: 240
; IeeeMode: 1
; LDSByteSize: 0 bytes/workgroup (compile time only)
; SGPRBlocks: 2
; VGPRBlocks: 13
; NumSGPRsForWavesPerEU: 17
; NumVGPRsForWavesPerEU: 53
; Occupancy: 4
; WaveLimiterHint : 1
; COMPUTE_PGM_RSRC2:SCRATCH_EN: 0
; COMPUTE_PGM_RSRC2:USER_SGPR: 6
; COMPUTE_PGM_RSRC2:TRAP_HANDLER: 0
; COMPUTE_PGM_RSRC2:TGID_X_EN: 1
; COMPUTE_PGM_RSRC2:TGID_Y_EN: 0
; COMPUTE_PGM_RSRC2:TGID_Z_EN: 0
; COMPUTE_PGM_RSRC2:TIDIG_COMP_CNT: 0
	.type	__hip_cuid_70e333a681e1b846,@object ; @__hip_cuid_70e333a681e1b846
	.section	.bss,"aw",@nobits
	.globl	__hip_cuid_70e333a681e1b846
__hip_cuid_70e333a681e1b846:
	.byte	0                               ; 0x0
	.size	__hip_cuid_70e333a681e1b846, 1

	.ident	"AMD clang version 19.0.0git (https://github.com/RadeonOpenCompute/llvm-project roc-6.4.0 25133 c7fe45cf4b819c5991fe208aaa96edf142730f1d)"
	.section	".note.GNU-stack","",@progbits
	.addrsig
	.addrsig_sym __hip_cuid_70e333a681e1b846
	.amdgpu_metadata
---
amdhsa.kernels:
  - .args:
      - .actual_access:  read_only
        .address_space:  global
        .offset:         0
        .size:           8
        .value_kind:     global_buffer
      - .actual_access:  read_only
        .address_space:  global
        .offset:         8
        .size:           8
        .value_kind:     global_buffer
      - .actual_access:  read_only
        .address_space:  global
        .offset:         16
        .size:           8
        .value_kind:     global_buffer
      - .offset:         24
        .size:           8
        .value_kind:     by_value
      - .actual_access:  read_only
        .address_space:  global
        .offset:         32
        .size:           8
        .value_kind:     global_buffer
      - .actual_access:  read_only
        .address_space:  global
        .offset:         40
        .size:           8
        .value_kind:     global_buffer
      - .offset:         48
        .size:           4
        .value_kind:     by_value
      - .actual_access:  read_only
        .address_space:  global
        .offset:         56
        .size:           8
        .value_kind:     global_buffer
      - .actual_access:  read_only
        .address_space:  global
        .offset:         64
        .size:           8
        .value_kind:     global_buffer
      - .address_space:  global
        .offset:         72
        .size:           8
        .value_kind:     global_buffer
    .group_segment_fixed_size: 0
    .kernarg_segment_align: 8
    .kernarg_segment_size: 80
    .language:       OpenCL C
    .language_version:
      - 2
      - 0
    .max_flat_workgroup_size: 256
    .name:           fft_rtc_back_len192_factors_3_4_4_4_wgs_256_tpt_16_halfLds_dim3_sp_ip_CI_unitstride_sbrr_dirReg
    .private_segment_fixed_size: 0
    .sgpr_count:     17
    .sgpr_spill_count: 0
    .symbol:         fft_rtc_back_len192_factors_3_4_4_4_wgs_256_tpt_16_halfLds_dim3_sp_ip_CI_unitstride_sbrr_dirReg.kd
    .uniform_work_group_size: 1
    .uses_dynamic_stack: false
    .vgpr_count:     53
    .vgpr_spill_count: 0
    .wavefront_size: 64
amdhsa.target:   amdgcn-amd-amdhsa--gfx906
amdhsa.version:
  - 1
  - 2
...

	.end_amdgpu_metadata
